;; amdgpu-corpus repo=ROCm/rocFFT kind=compiled arch=gfx950 opt=O3
	.text
	.amdgcn_target "amdgcn-amd-amdhsa--gfx950"
	.amdhsa_code_object_version 6
	.protected	bluestein_single_back_len5_dim1_sp_op_CI_CI ; -- Begin function bluestein_single_back_len5_dim1_sp_op_CI_CI
	.globl	bluestein_single_back_len5_dim1_sp_op_CI_CI
	.p2align	8
	.type	bluestein_single_back_len5_dim1_sp_op_CI_CI,@function
bluestein_single_back_len5_dim1_sp_op_CI_CI: ; @bluestein_single_back_len5_dim1_sp_op_CI_CI
; %bb.0:
	s_load_dwordx4 s[8:11], s[0:1], 0x28
	v_lshl_or_b32 v2, s2, 7, v0
	v_mov_b32_e32 v3, 0
	s_waitcnt lgkmcnt(0)
	v_cmp_gt_u64_e32 vcc, s[8:9], v[2:3]
	s_and_saveexec_b64 s[2:3], vcc
	s_cbranch_execz .LBB0_2
; %bb.1:
	s_load_dwordx4 s[20:23], s[0:1], 0x18
	s_load_dwordx2 s[26:27], s[0:1], 0x0
	v_mov_b32_e32 v4, s10
	v_mov_b32_e32 v5, s11
	v_mul_u32_u24_e32 v34, 40, v0
	s_waitcnt lgkmcnt(0)
	s_load_dwordx4 s[4:7], s[20:21], 0x0
	s_mov_b32 s20, 0x3f737871
	s_waitcnt lgkmcnt(0)
	v_mad_u64_u32 v[6:7], s[2:3], s6, v2, 0
	v_mov_b32_e32 v8, v7
	v_mad_u64_u32 v[8:9], s[2:3], s7, v2, v[8:9]
	v_mov_b32_e32 v7, v8
	v_lshl_add_u64 v[4:5], v[6:7], 3, v[4:5]
	s_lshl_b64 s[2:3], s[4:5], 5
	v_lshl_add_u64 v[8:9], s[4:5], 3, v[4:5]
	v_lshl_add_u64 v[12:13], v[4:5], 0, s[2:3]
	global_load_dwordx2 v[6:7], v[4:5], off
	v_lshl_add_u64 v[10:11], s[4:5], 4, v[4:5]
	global_load_dwordx2 v[8:9], v[8:9], off
	s_nop 0
	global_load_dwordx2 v[12:13], v[12:13], off
	v_mad_u64_u32 v[4:5], s[2:3], s4, 24, v[4:5]
	v_mov_b32_e32 v14, v5
	v_mad_u64_u32 v[14:15], s[2:3], s5, 24, v[14:15]
	v_mov_b32_e32 v5, v14
	global_load_dwordx2 v[10:11], v[10:11], off
	s_nop 0
	global_load_dwordx2 v[4:5], v[4:5], off
	s_load_dwordx16 s[4:19], s[26:27], 0x0
	s_load_dwordx2 s[28:29], s[0:1], 0x38
	s_waitcnt lgkmcnt(0)
	s_mov_b32 s24, s11
	s_load_dwordx4 s[0:3], s[22:23], 0x0
	s_mov_b32 s22, s7
	s_mov_b32 s30, s9
	s_waitcnt vmcnt(4)
	v_pk_mul_f32 v[0:1], v[6:7], s[4:5] op_sel_hi:[1,0]
	v_pk_mul_f32 v[6:7], v[6:7], s[4:5] op_sel:[0,1]
	s_waitcnt vmcnt(3)
	v_pk_mul_f32 v[14:15], v[8:9], s[6:7] op_sel_hi:[1,0]
	v_pk_mul_f32 v[8:9], v[8:9], s[22:23] op_sel_hi:[1,0]
	v_mov_b32_e32 v16, v7
	v_sub_f32_e32 v7, v1, v6
	v_mov_b32_e32 v17, v9
	v_mov_b32_e32 v1, v14
	v_pk_add_f32 v[0:1], v[0:1], v[16:17]
	v_sub_f32_e32 v9, v15, v8
	v_mov_b32_e32 v6, v0
	s_waitcnt vmcnt(1)
	v_pk_mul_f32 v[18:19], v[10:11], s[8:9] op_sel_hi:[1,0]
	v_pk_mul_f32 v[10:11], v[10:11], s[30:31] op_sel_hi:[1,0]
	v_mov_b32_e32 v8, v1
	s_waitcnt vmcnt(0)
	v_pk_mul_f32 v[0:1], v[4:5], s[10:11] op_sel_hi:[1,0]
	v_pk_mul_f32 v[4:5], v[4:5], s[24:25] op_sel_hi:[1,0]
	v_mov_b32_e32 v14, v11
	v_sub_f32_e32 v11, v19, v10
	v_mov_b32_e32 v15, v5
	v_mov_b32_e32 v19, v0
	v_mul_f32_e32 v20, s13, v13
	v_mul_f32_e32 v3, s13, v12
	v_sub_f32_e32 v1, v1, v4
	v_pk_add_f32 v[4:5], v[18:19], v[14:15]
	v_fmac_f32_e32 v20, s12, v12
	v_fma_f32 v21, v13, s12, -v3
	v_mov_b32_e32 v10, v4
	v_mov_b32_e32 v0, v5
	ds_write_b64 v34, v[20:21] offset:32
	ds_write2_b64 v34, v[6:7], v[8:9] offset1:1
	ds_write2_b64 v34, v[10:11], v[0:1] offset0:2 offset1:3
	s_waitcnt lgkmcnt(0)
	s_barrier
	ds_read2_b64 v[4:7], v34 offset1:1
	ds_read2_b64 v[8:11], v34 offset0:2 offset1:3
	ds_read_b64 v[0:1], v34 offset:32
	s_mov_b32 s24, 0x3f167918
	s_mov_b32 s22, 0x3e9e377a
	s_waitcnt lgkmcnt(2)
	v_pk_add_f32 v[12:13], v[4:5], v[6:7]
	s_waitcnt lgkmcnt(1)
	v_pk_add_f32 v[14:15], v[8:9], v[10:11]
	s_waitcnt lgkmcnt(0)
	v_pk_add_f32 v[16:17], v[6:7], v[0:1] neg_lo:[0,1] neg_hi:[0,1]
	v_pk_add_f32 v[18:19], v[8:9], v[10:11] neg_lo:[0,1] neg_hi:[0,1]
	;; [unrolled: 1-line block ×3, first 2 shown]
	v_pk_add_f32 v[24:25], v[6:7], v[0:1]
	v_pk_add_f32 v[6:7], v[8:9], v[6:7] neg_lo:[0,1] neg_hi:[0,1]
	v_pk_add_f32 v[8:9], v[12:13], v[8:9]
	v_pk_fma_f32 v[12:13], v[14:15], 0.5, v[4:5] op_sel_hi:[1,0,1] neg_lo:[1,0,0] neg_hi:[1,0,0]
	v_pk_mul_f32 v[14:15], v[16:17], s[20:21] op_sel_hi:[1,0]
	v_pk_add_f32 v[22:23], v[0:1], v[10:11] neg_lo:[0,1] neg_hi:[0,1]
	v_pk_add_f32 v[26:27], v[10:11], v[0:1] neg_lo:[0,1] neg_hi:[0,1]
	v_pk_mul_f32 v[28:29], v[18:19], s[24:25] op_sel_hi:[1,0]
	v_pk_fma_f32 v[4:5], v[24:25], 0.5, v[4:5] op_sel_hi:[1,0,1] neg_lo:[1,0,0] neg_hi:[1,0,0]
	v_pk_mul_f32 v[18:19], v[18:19], s[20:21] op_sel_hi:[1,0]
	v_pk_add_f32 v[8:9], v[8:9], v[10:11]
	v_pk_add_f32 v[10:11], v[12:13], v[14:15] op_sel:[0,1] op_sel_hi:[1,0]
	v_pk_add_f32 v[12:13], v[12:13], v[14:15] op_sel:[0,1] op_sel_hi:[1,0] neg_lo:[0,1] neg_hi:[0,1]
	v_pk_mul_f32 v[16:17], v[16:17], s[24:25] op_sel_hi:[1,0]
	v_pk_add_f32 v[14:15], v[4:5], v[18:19] op_sel:[0,1] op_sel_hi:[1,0] neg_lo:[0,1] neg_hi:[0,1]
	v_pk_add_f32 v[4:5], v[4:5], v[18:19] op_sel:[0,1] op_sel_hi:[1,0]
	v_pk_add_f32 v[0:1], v[8:9], v[0:1]
	v_pk_add_f32 v[8:9], v[12:13], v[28:29] op_sel:[0,1] op_sel_hi:[1,0] neg_lo:[0,1] neg_hi:[0,1]
	v_pk_add_f32 v[10:11], v[10:11], v[28:29] op_sel:[0,1] op_sel_hi:[1,0]
	v_pk_add_f32 v[20:21], v[20:21], v[22:23]
	v_pk_add_f32 v[4:5], v[4:5], v[16:17] op_sel:[0,1] op_sel_hi:[1,0] neg_lo:[0,1] neg_hi:[0,1]
	v_pk_add_f32 v[12:13], v[14:15], v[16:17] op_sel:[0,1] op_sel_hi:[1,0]
	v_mov_b32_e32 v14, v10
	v_mov_b32_e32 v15, v9
	v_pk_add_f32 v[6:7], v[6:7], v[26:27]
	v_mov_b32_e32 v16, v12
	v_mov_b32_e32 v17, v5
	;; [unrolled: 1-line block ×4, first 2 shown]
	v_pk_fma_f32 v[10:11], v[20:21], s[22:23], v[14:15] op_sel_hi:[1,0,1]
	v_pk_fma_f32 v[12:13], v[6:7], s[22:23], v[16:17] op_sel_hi:[1,0,1]
	;; [unrolled: 1-line block ×3, first 2 shown]
	ds_write2_b64 v34, v[0:1], v[10:11] offset1:1
	ds_write2_b64 v34, v[12:13], v[4:5] offset0:2 offset1:3
	v_pk_fma_f32 v[0:1], v[20:21], s[22:23], v[8:9] op_sel_hi:[1,0,1]
	ds_write_b64 v34, v[0:1] offset:32
	s_waitcnt lgkmcnt(0)
	s_barrier
	ds_read2_b64 v[4:7], v34 offset1:1
	ds_read2_b64 v[8:11], v34 offset0:2 offset1:3
	v_mov_b32_e32 v12, s28
	v_mov_b32_e32 v13, s29
	s_load_dwordx4 s[28:31], s[26:27], 0x40
	s_waitcnt lgkmcnt(0)
	v_pk_mul_f32 v[14:15], v[4:5], s[14:15] op_sel_hi:[1,0]
	s_mov_b32 s14, s17
	v_pk_mul_f32 v[0:1], v[6:7], s[16:17] op_sel_hi:[1,0]
	v_pk_mul_f32 v[6:7], v[6:7], s[14:15] op_sel_hi:[1,0]
	s_mov_b32 s14, s15
	v_pk_mul_f32 v[4:5], v[4:5], s[14:15] op_sel_hi:[1,0]
	v_sub_f32_e32 v16, v0, v7
	v_sub_f32_e32 v14, v14, v5
	v_mov_b32_e32 v5, v6
	v_mov_b32_e32 v0, v15
	v_pk_add_f32 v[0:1], v[0:1], v[4:5]
	s_mov_b32 s14, s19
	v_mov_b32_e32 v15, v0
	v_mov_b32_e32 v17, v1
	v_pk_mul_f32 v[0:1], v[10:11], s[28:29] op_sel_hi:[1,0]
	v_pk_mul_f32 v[4:5], v[8:9], s[18:19] op_sel_hi:[1,0]
	v_pk_mul_f32 v[6:7], v[10:11], s[28:29] op_sel:[0,1]
	v_pk_mul_f32 v[8:9], v[8:9], s[14:15] op_sel_hi:[1,0]
	v_sub_f32_e32 v10, v0, v7
	v_sub_f32_e32 v4, v4, v9
	v_mov_b32_e32 v9, v6
	ds_read_b64 v[6:7], v34 offset:32
	v_mov_b32_e32 v0, v5
	v_pk_add_f32 v[0:1], v[0:1], v[8:9]
	ds_write2_b64 v34, v[14:15], v[16:17] offset1:1
	v_mov_b32_e32 v5, v0
	v_mov_b32_e32 v11, v1
	s_waitcnt lgkmcnt(1)
	v_mul_f32_e32 v0, s31, v7
	v_mul_f32_e32 v1, s31, v6
	v_fma_f32 v0, v6, s30, -v0
	v_fmac_f32_e32 v1, s30, v7
	ds_write2_b64 v34, v[4:5], v[10:11] offset0:2 offset1:3
	ds_write_b64 v34, v[0:1] offset:32
	s_waitcnt lgkmcnt(0)
	s_barrier
	ds_read2_b64 v[4:7], v34 offset1:1
	ds_read2_b64 v[8:11], v34 offset0:2 offset1:3
	ds_read_b64 v[0:1], v34 offset:32
	v_mad_u64_u32 v[14:15], s[14:15], s2, v2, 0
	s_waitcnt lgkmcnt(2)
	v_pk_add_f32 v[18:19], v[4:5], v[6:7]
	s_waitcnt lgkmcnt(1)
	v_pk_add_f32 v[20:21], v[8:9], v[10:11]
	s_waitcnt lgkmcnt(0)
	v_pk_add_f32 v[22:23], v[6:7], v[0:1] neg_lo:[0,1] neg_hi:[0,1]
	v_pk_fma_f32 v[20:21], v[20:21], 0.5, v[4:5] op_sel_hi:[1,0,1] neg_lo:[1,0,0] neg_hi:[1,0,0]
	v_pk_mul_f32 v[24:25], v[22:23], s[20:21] op_sel_hi:[1,0]
	v_pk_add_f32 v[26:27], v[8:9], v[10:11] neg_lo:[0,1] neg_hi:[0,1]
	v_pk_add_f32 v[30:31], v[6:7], v[8:9] neg_lo:[0,1] neg_hi:[0,1]
	;; [unrolled: 1-line block ×3, first 2 shown]
	v_pk_mul_f32 v[28:29], v[26:27], s[24:25] op_sel_hi:[1,0]
	v_pk_add_f32 v[30:31], v[30:31], v[32:33]
	v_pk_add_f32 v[32:33], v[20:21], v[24:25] op_sel:[0,1] op_sel_hi:[1,0] neg_lo:[0,1] neg_hi:[0,1]
	v_pk_add_f32 v[20:21], v[20:21], v[24:25] op_sel:[0,1] op_sel_hi:[1,0]
	v_pk_add_f32 v[18:19], v[18:19], v[8:9]
	v_pk_add_f32 v[20:21], v[20:21], v[28:29] op_sel:[0,1] op_sel_hi:[1,0]
	v_pk_add_f32 v[24:25], v[32:33], v[28:29] op_sel:[0,1] op_sel_hi:[1,0] neg_lo:[0,1] neg_hi:[0,1]
	v_pk_add_f32 v[18:19], v[18:19], v[10:11]
	v_mov_b32_e32 v28, v24
	v_mov_b32_e32 v29, v21
	v_pk_add_f32 v[18:19], v[18:19], v[0:1]
	v_pk_fma_f32 v[28:29], v[30:31], s[22:23], v[28:29] op_sel_hi:[1,0,1]
	ds_write2_b64 v34, v[18:19], v[28:29] offset1:1
	v_pk_add_f32 v[18:19], v[6:7], v[0:1]
	v_pk_add_f32 v[6:7], v[8:9], v[6:7] neg_lo:[0,1] neg_hi:[0,1]
	v_pk_add_f32 v[0:1], v[10:11], v[0:1] neg_lo:[0,1] neg_hi:[0,1]
	v_pk_fma_f32 v[4:5], v[18:19], 0.5, v[4:5] op_sel_hi:[1,0,1] neg_lo:[1,0,0] neg_hi:[1,0,0]
	v_pk_add_f32 v[0:1], v[6:7], v[0:1]
	v_pk_mul_f32 v[6:7], v[26:27], s[20:21] op_sel_hi:[1,0]
	v_pk_mul_f32 v[8:9], v[22:23], s[24:25] op_sel_hi:[1,0]
	v_pk_add_f32 v[10:11], v[4:5], v[6:7] op_sel:[0,1] op_sel_hi:[1,0]
	v_pk_add_f32 v[4:5], v[4:5], v[6:7] op_sel:[0,1] op_sel_hi:[1,0] neg_lo:[0,1] neg_hi:[0,1]
	v_pk_add_f32 v[6:7], v[10:11], v[8:9] op_sel:[0,1] op_sel_hi:[1,0] neg_lo:[0,1] neg_hi:[0,1]
	v_pk_add_f32 v[4:5], v[4:5], v[8:9] op_sel:[0,1] op_sel_hi:[1,0]
	v_mov_b32_e32 v8, v6
	v_mov_b32_e32 v9, v5
	;; [unrolled: 1-line block ×3, first 2 shown]
	v_pk_fma_f32 v[8:9], v[0:1], s[22:23], v[8:9] op_sel_hi:[1,0,1]
	v_pk_fma_f32 v[0:1], v[0:1], s[22:23], v[4:5] op_sel_hi:[1,0,1]
	v_mov_b32_e32 v21, v25
	ds_write2_b64 v34, v[8:9], v[0:1] offset0:2 offset1:3
	v_pk_fma_f32 v[0:1], v[30:31], s[22:23], v[20:21] op_sel_hi:[1,0,1]
	ds_write_b64 v34, v[0:1] offset:32
	s_waitcnt lgkmcnt(0)
	s_barrier
	ds_read2_b64 v[4:7], v34 offset1:1
	v_mov_b32_e32 v16, v15
	v_mad_u64_u32 v[0:1], s[2:3], s3, v2, v[16:17]
	v_mov_b32_e32 v15, v0
	ds_read2_b64 v[0:3], v34 offset0:2 offset1:3
	s_waitcnt lgkmcnt(1)
	v_mul_f32_e32 v8, s5, v5
	v_fmac_f32_e32 v8, s4, v4
	v_mul_f32_e32 v4, s5, v4
	s_mov_b32 s2, 0x9999999a
	v_fma_f32 v4, s4, v5, -v4
	v_cvt_f64_f32_e32 v[8:9], v8
	s_mov_b32 s3, 0x3fc99999
	v_cvt_f64_f32_e32 v[4:5], v4
	v_mul_f64 v[8:9], v[8:9], s[2:3]
	v_mul_f64 v[4:5], v[4:5], s[2:3]
	v_cvt_f32_f64_e32 v8, v[8:9]
	v_cvt_f32_f64_e32 v9, v[4:5]
	v_lshl_add_u64 v[4:5], v[14:15], 3, v[12:13]
	global_store_dwordx2 v[4:5], v[8:9], off
	v_mul_f32_e32 v8, s7, v7
	v_fmac_f32_e32 v8, s6, v6
	v_mul_f32_e32 v6, s7, v6
	v_fma_f32 v6, s6, v7, -v6
	v_cvt_f64_f32_e32 v[8:9], v8
	v_cvt_f64_f32_e32 v[6:7], v6
	v_mul_f64 v[8:9], v[8:9], s[2:3]
	v_mul_f64 v[6:7], v[6:7], s[2:3]
	v_cvt_f32_f64_e32 v8, v[8:9]
	v_cvt_f32_f64_e32 v9, v[6:7]
	v_lshl_add_u64 v[6:7], s[0:1], 3, v[4:5]
	global_store_dwordx2 v[6:7], v[8:9], off
	s_waitcnt lgkmcnt(0)
	v_mul_f32_e32 v6, s9, v1
	v_fmac_f32_e32 v6, s8, v0
	v_mul_f32_e32 v0, s9, v0
	v_fma_f32 v0, s8, v1, -v0
	v_cvt_f64_f32_e32 v[6:7], v6
	v_cvt_f64_f32_e32 v[0:1], v0
	v_mul_f64 v[6:7], v[6:7], s[2:3]
	v_mul_f64 v[0:1], v[0:1], s[2:3]
	v_cvt_f32_f64_e32 v6, v[6:7]
	v_cvt_f32_f64_e32 v7, v[0:1]
	v_lshl_add_u64 v[0:1], s[0:1], 4, v[4:5]
	global_store_dwordx2 v[0:1], v[6:7], off
	v_mul_f32_e32 v0, s11, v3
	v_fmac_f32_e32 v0, s10, v2
	v_cvt_f64_f32_e32 v[0:1], v0
	v_mul_f64 v[0:1], v[0:1], s[2:3]
	v_cvt_f32_f64_e32 v0, v[0:1]
	v_mul_f32_e32 v1, s11, v2
	v_fma_f32 v1, s10, v3, -v1
	v_cvt_f64_f32_e32 v[2:3], v1
	v_mul_f64 v[2:3], v[2:3], s[2:3]
	ds_read_b64 v[8:9], v34 offset:32
	v_cvt_f32_f64_e32 v1, v[2:3]
	v_mad_u64_u32 v[2:3], s[4:5], s0, 24, v[4:5]
	v_mov_b32_e32 v6, v3
	v_mad_u64_u32 v[6:7], s[4:5], s1, 24, v[6:7]
	v_mov_b32_e32 v3, v6
	global_store_dwordx2 v[2:3], v[0:1], off
	s_waitcnt lgkmcnt(0)
	v_mul_f32_e32 v0, s13, v9
	v_fmac_f32_e32 v0, s12, v8
	v_cvt_f64_f32_e32 v[0:1], v0
	v_mul_f64 v[0:1], v[0:1], s[2:3]
	v_cvt_f32_f64_e32 v0, v[0:1]
	v_mul_f32_e32 v1, s13, v8
	v_fma_f32 v1, s12, v9, -v1
	v_cvt_f64_f32_e32 v[2:3], v1
	v_mul_f64 v[2:3], v[2:3], s[2:3]
	s_lshl_b64 s[0:1], s[0:1], 5
	v_cvt_f32_f64_e32 v1, v[2:3]
	v_lshl_add_u64 v[2:3], v[4:5], 0, s[0:1]
	global_store_dwordx2 v[2:3], v[0:1], off
.LBB0_2:
	s_endpgm
	.section	.rodata,"a",@progbits
	.p2align	6, 0x0
	.amdhsa_kernel bluestein_single_back_len5_dim1_sp_op_CI_CI
		.amdhsa_group_segment_fixed_size 5120
		.amdhsa_private_segment_fixed_size 0
		.amdhsa_kernarg_size 104
		.amdhsa_user_sgpr_count 2
		.amdhsa_user_sgpr_dispatch_ptr 0
		.amdhsa_user_sgpr_queue_ptr 0
		.amdhsa_user_sgpr_kernarg_segment_ptr 1
		.amdhsa_user_sgpr_dispatch_id 0
		.amdhsa_user_sgpr_kernarg_preload_length 0
		.amdhsa_user_sgpr_kernarg_preload_offset 0
		.amdhsa_user_sgpr_private_segment_size 0
		.amdhsa_uses_dynamic_stack 0
		.amdhsa_enable_private_segment 0
		.amdhsa_system_sgpr_workgroup_id_x 1
		.amdhsa_system_sgpr_workgroup_id_y 0
		.amdhsa_system_sgpr_workgroup_id_z 0
		.amdhsa_system_sgpr_workgroup_info 0
		.amdhsa_system_vgpr_workitem_id 0
		.amdhsa_next_free_vgpr 35
		.amdhsa_next_free_sgpr 32
		.amdhsa_accum_offset 36
		.amdhsa_reserve_vcc 1
		.amdhsa_float_round_mode_32 0
		.amdhsa_float_round_mode_16_64 0
		.amdhsa_float_denorm_mode_32 3
		.amdhsa_float_denorm_mode_16_64 3
		.amdhsa_dx10_clamp 1
		.amdhsa_ieee_mode 1
		.amdhsa_fp16_overflow 0
		.amdhsa_tg_split 0
		.amdhsa_exception_fp_ieee_invalid_op 0
		.amdhsa_exception_fp_denorm_src 0
		.amdhsa_exception_fp_ieee_div_zero 0
		.amdhsa_exception_fp_ieee_overflow 0
		.amdhsa_exception_fp_ieee_underflow 0
		.amdhsa_exception_fp_ieee_inexact 0
		.amdhsa_exception_int_div_zero 0
	.end_amdhsa_kernel
	.text
.Lfunc_end0:
	.size	bluestein_single_back_len5_dim1_sp_op_CI_CI, .Lfunc_end0-bluestein_single_back_len5_dim1_sp_op_CI_CI
                                        ; -- End function
	.section	.AMDGPU.csdata,"",@progbits
; Kernel info:
; codeLenInByte = 1856
; NumSgprs: 38
; NumVgprs: 35
; NumAgprs: 0
; TotalNumVgprs: 35
; ScratchSize: 0
; MemoryBound: 0
; FloatMode: 240
; IeeeMode: 1
; LDSByteSize: 5120 bytes/workgroup (compile time only)
; SGPRBlocks: 4
; VGPRBlocks: 4
; NumSGPRsForWavesPerEU: 38
; NumVGPRsForWavesPerEU: 35
; AccumOffset: 36
; Occupancy: 8
; WaveLimiterHint : 1
; COMPUTE_PGM_RSRC2:SCRATCH_EN: 0
; COMPUTE_PGM_RSRC2:USER_SGPR: 2
; COMPUTE_PGM_RSRC2:TRAP_HANDLER: 0
; COMPUTE_PGM_RSRC2:TGID_X_EN: 1
; COMPUTE_PGM_RSRC2:TGID_Y_EN: 0
; COMPUTE_PGM_RSRC2:TGID_Z_EN: 0
; COMPUTE_PGM_RSRC2:TIDIG_COMP_CNT: 0
; COMPUTE_PGM_RSRC3_GFX90A:ACCUM_OFFSET: 8
; COMPUTE_PGM_RSRC3_GFX90A:TG_SPLIT: 0
	.text
	.p2alignl 6, 3212836864
	.fill 256, 4, 3212836864
	.type	__hip_cuid_babfd84b5a141f43,@object ; @__hip_cuid_babfd84b5a141f43
	.section	.bss,"aw",@nobits
	.globl	__hip_cuid_babfd84b5a141f43
__hip_cuid_babfd84b5a141f43:
	.byte	0                               ; 0x0
	.size	__hip_cuid_babfd84b5a141f43, 1

	.ident	"AMD clang version 19.0.0git (https://github.com/RadeonOpenCompute/llvm-project roc-6.4.0 25133 c7fe45cf4b819c5991fe208aaa96edf142730f1d)"
	.section	".note.GNU-stack","",@progbits
	.addrsig
	.addrsig_sym __hip_cuid_babfd84b5a141f43
	.amdgpu_metadata
---
amdhsa.kernels:
  - .agpr_count:     0
    .args:
      - .actual_access:  read_only
        .address_space:  global
        .offset:         0
        .size:           8
        .value_kind:     global_buffer
      - .actual_access:  read_only
        .address_space:  global
        .offset:         8
        .size:           8
        .value_kind:     global_buffer
      - .actual_access:  read_only
        .address_space:  global
        .offset:         16
        .size:           8
        .value_kind:     global_buffer
      - .actual_access:  read_only
        .address_space:  global
        .offset:         24
        .size:           8
        .value_kind:     global_buffer
      - .actual_access:  read_only
        .address_space:  global
        .offset:         32
        .size:           8
        .value_kind:     global_buffer
      - .offset:         40
        .size:           8
        .value_kind:     by_value
      - .address_space:  global
        .offset:         48
        .size:           8
        .value_kind:     global_buffer
      - .address_space:  global
        .offset:         56
        .size:           8
        .value_kind:     global_buffer
      - .address_space:  global
        .offset:         64
        .size:           8
        .value_kind:     global_buffer
      - .address_space:  global
        .offset:         72
        .size:           8
        .value_kind:     global_buffer
      - .offset:         80
        .size:           4
        .value_kind:     by_value
      - .address_space:  global
        .offset:         88
        .size:           8
        .value_kind:     global_buffer
      - .address_space:  global
        .offset:         96
        .size:           8
        .value_kind:     global_buffer
    .group_segment_fixed_size: 5120
    .kernarg_segment_align: 8
    .kernarg_segment_size: 104
    .language:       OpenCL C
    .language_version:
      - 2
      - 0
    .max_flat_workgroup_size: 128
    .name:           bluestein_single_back_len5_dim1_sp_op_CI_CI
    .private_segment_fixed_size: 0
    .sgpr_count:     38
    .sgpr_spill_count: 0
    .symbol:         bluestein_single_back_len5_dim1_sp_op_CI_CI.kd
    .uniform_work_group_size: 1
    .uses_dynamic_stack: false
    .vgpr_count:     35
    .vgpr_spill_count: 0
    .wavefront_size: 64
amdhsa.target:   amdgcn-amd-amdhsa--gfx950
amdhsa.version:
  - 1
  - 2
...

	.end_amdgpu_metadata
